;; amdgpu-corpus repo=ROCm/rocFFT kind=compiled arch=gfx906 opt=O3
	.text
	.amdgcn_target "amdgcn-amd-amdhsa--gfx906"
	.amdhsa_code_object_version 6
	.protected	fft_rtc_back_len1820_factors_10_13_7_2_wgs_182_tpt_182_halfLds_sp_op_CI_CI_sbrr_dirReg ; -- Begin function fft_rtc_back_len1820_factors_10_13_7_2_wgs_182_tpt_182_halfLds_sp_op_CI_CI_sbrr_dirReg
	.globl	fft_rtc_back_len1820_factors_10_13_7_2_wgs_182_tpt_182_halfLds_sp_op_CI_CI_sbrr_dirReg
	.p2align	8
	.type	fft_rtc_back_len1820_factors_10_13_7_2_wgs_182_tpt_182_halfLds_sp_op_CI_CI_sbrr_dirReg,@function
fft_rtc_back_len1820_factors_10_13_7_2_wgs_182_tpt_182_halfLds_sp_op_CI_CI_sbrr_dirReg: ; @fft_rtc_back_len1820_factors_10_13_7_2_wgs_182_tpt_182_halfLds_sp_op_CI_CI_sbrr_dirReg
; %bb.0:
	s_load_dwordx4 s[16:19], s[4:5], 0x18
	s_load_dwordx4 s[12:15], s[4:5], 0x0
	;; [unrolled: 1-line block ×3, first 2 shown]
	v_mul_u32_u24_e32 v1, 0x169, v0
	v_mov_b32_e32 v3, 0
	s_waitcnt lgkmcnt(0)
	s_load_dwordx2 s[2:3], s[16:17], 0x0
	s_load_dwordx2 s[20:21], s[18:19], 0x0
	v_cmp_lt_u64_e64 s[0:1], s[14:15], 2
	v_mov_b32_e32 v9, 0
	v_add_u32_sdwa v7, s6, v1 dst_sel:DWORD dst_unused:UNUSED_PAD src0_sel:DWORD src1_sel:WORD_1
	v_mov_b32_e32 v8, v3
	s_and_b64 vcc, exec, s[0:1]
	v_mov_b32_e32 v10, 0
	s_cbranch_vccnz .LBB0_8
; %bb.1:
	s_load_dwordx2 s[0:1], s[4:5], 0x10
	s_add_u32 s6, s18, 8
	s_addc_u32 s7, s19, 0
	s_add_u32 s22, s16, 8
	s_addc_u32 s23, s17, 0
	v_mov_b32_e32 v9, 0
	s_waitcnt lgkmcnt(0)
	s_add_u32 s24, s0, 8
	v_mov_b32_e32 v10, 0
	v_mov_b32_e32 v1, v9
	s_addc_u32 s25, s1, 0
	s_mov_b64 s[26:27], 1
	v_mov_b32_e32 v2, v10
.LBB0_2:                                ; =>This Inner Loop Header: Depth=1
	s_load_dwordx2 s[28:29], s[24:25], 0x0
                                        ; implicit-def: $vgpr5_vgpr6
	s_waitcnt lgkmcnt(0)
	v_or_b32_e32 v4, s29, v8
	v_cmp_ne_u64_e32 vcc, 0, v[3:4]
	s_and_saveexec_b64 s[0:1], vcc
	s_xor_b64 s[30:31], exec, s[0:1]
	s_cbranch_execz .LBB0_4
; %bb.3:                                ;   in Loop: Header=BB0_2 Depth=1
	v_cvt_f32_u32_e32 v4, s28
	v_cvt_f32_u32_e32 v5, s29
	s_sub_u32 s0, 0, s28
	s_subb_u32 s1, 0, s29
	v_mac_f32_e32 v4, 0x4f800000, v5
	v_rcp_f32_e32 v4, v4
	v_mul_f32_e32 v4, 0x5f7ffffc, v4
	v_mul_f32_e32 v5, 0x2f800000, v4
	v_trunc_f32_e32 v5, v5
	v_mac_f32_e32 v4, 0xcf800000, v5
	v_cvt_u32_f32_e32 v5, v5
	v_cvt_u32_f32_e32 v4, v4
	v_mul_lo_u32 v6, s0, v5
	v_mul_hi_u32 v11, s0, v4
	v_mul_lo_u32 v13, s1, v4
	v_mul_lo_u32 v12, s0, v4
	v_add_u32_e32 v6, v11, v6
	v_add_u32_e32 v6, v6, v13
	v_mul_hi_u32 v11, v4, v12
	v_mul_lo_u32 v13, v4, v6
	v_mul_hi_u32 v15, v4, v6
	v_mul_hi_u32 v14, v5, v12
	v_mul_lo_u32 v12, v5, v12
	v_mul_hi_u32 v16, v5, v6
	v_add_co_u32_e32 v11, vcc, v11, v13
	v_addc_co_u32_e32 v13, vcc, 0, v15, vcc
	v_mul_lo_u32 v6, v5, v6
	v_add_co_u32_e32 v11, vcc, v11, v12
	v_addc_co_u32_e32 v11, vcc, v13, v14, vcc
	v_addc_co_u32_e32 v12, vcc, 0, v16, vcc
	v_add_co_u32_e32 v6, vcc, v11, v6
	v_addc_co_u32_e32 v11, vcc, 0, v12, vcc
	v_add_co_u32_e32 v4, vcc, v4, v6
	v_addc_co_u32_e32 v5, vcc, v5, v11, vcc
	v_mul_lo_u32 v6, s0, v5
	v_mul_hi_u32 v11, s0, v4
	v_mul_lo_u32 v12, s1, v4
	v_mul_lo_u32 v13, s0, v4
	v_add_u32_e32 v6, v11, v6
	v_add_u32_e32 v6, v6, v12
	v_mul_lo_u32 v14, v4, v6
	v_mul_hi_u32 v15, v4, v13
	v_mul_hi_u32 v16, v4, v6
	;; [unrolled: 1-line block ×3, first 2 shown]
	v_mul_lo_u32 v13, v5, v13
	v_mul_hi_u32 v11, v5, v6
	v_add_co_u32_e32 v14, vcc, v15, v14
	v_addc_co_u32_e32 v15, vcc, 0, v16, vcc
	v_mul_lo_u32 v6, v5, v6
	v_add_co_u32_e32 v13, vcc, v14, v13
	v_addc_co_u32_e32 v12, vcc, v15, v12, vcc
	v_addc_co_u32_e32 v11, vcc, 0, v11, vcc
	v_add_co_u32_e32 v6, vcc, v12, v6
	v_addc_co_u32_e32 v11, vcc, 0, v11, vcc
	v_add_co_u32_e32 v6, vcc, v4, v6
	v_addc_co_u32_e32 v11, vcc, v5, v11, vcc
	v_mad_u64_u32 v[4:5], s[0:1], v7, v11, 0
	v_mul_hi_u32 v12, v7, v6
	v_add_co_u32_e32 v13, vcc, v12, v4
	v_addc_co_u32_e32 v14, vcc, 0, v5, vcc
	v_mad_u64_u32 v[4:5], s[0:1], v8, v6, 0
	v_mad_u64_u32 v[11:12], s[0:1], v8, v11, 0
	v_add_co_u32_e32 v4, vcc, v13, v4
	v_addc_co_u32_e32 v4, vcc, v14, v5, vcc
	v_addc_co_u32_e32 v5, vcc, 0, v12, vcc
	v_add_co_u32_e32 v11, vcc, v4, v11
	v_addc_co_u32_e32 v6, vcc, 0, v5, vcc
	v_mul_lo_u32 v12, s29, v11
	v_mul_lo_u32 v13, s28, v6
	v_mad_u64_u32 v[4:5], s[0:1], s28, v11, 0
	v_add3_u32 v5, v5, v13, v12
	v_sub_u32_e32 v12, v8, v5
	v_mov_b32_e32 v13, s29
	v_sub_co_u32_e32 v4, vcc, v7, v4
	v_subb_co_u32_e64 v12, s[0:1], v12, v13, vcc
	v_subrev_co_u32_e64 v13, s[0:1], s28, v4
	v_subbrev_co_u32_e64 v12, s[0:1], 0, v12, s[0:1]
	v_cmp_le_u32_e64 s[0:1], s29, v12
	v_cndmask_b32_e64 v14, 0, -1, s[0:1]
	v_cmp_le_u32_e64 s[0:1], s28, v13
	v_cndmask_b32_e64 v13, 0, -1, s[0:1]
	v_cmp_eq_u32_e64 s[0:1], s29, v12
	v_cndmask_b32_e64 v12, v14, v13, s[0:1]
	v_add_co_u32_e64 v13, s[0:1], 2, v11
	v_addc_co_u32_e64 v14, s[0:1], 0, v6, s[0:1]
	v_add_co_u32_e64 v15, s[0:1], 1, v11
	v_addc_co_u32_e64 v16, s[0:1], 0, v6, s[0:1]
	v_subb_co_u32_e32 v5, vcc, v8, v5, vcc
	v_cmp_ne_u32_e64 s[0:1], 0, v12
	v_cmp_le_u32_e32 vcc, s29, v5
	v_cndmask_b32_e64 v12, v16, v14, s[0:1]
	v_cndmask_b32_e64 v14, 0, -1, vcc
	v_cmp_le_u32_e32 vcc, s28, v4
	v_cndmask_b32_e64 v4, 0, -1, vcc
	v_cmp_eq_u32_e32 vcc, s29, v5
	v_cndmask_b32_e32 v4, v14, v4, vcc
	v_cmp_ne_u32_e32 vcc, 0, v4
	v_cndmask_b32_e64 v4, v15, v13, s[0:1]
	v_cndmask_b32_e32 v6, v6, v12, vcc
	v_cndmask_b32_e32 v5, v11, v4, vcc
.LBB0_4:                                ;   in Loop: Header=BB0_2 Depth=1
	s_andn2_saveexec_b64 s[0:1], s[30:31]
	s_cbranch_execz .LBB0_6
; %bb.5:                                ;   in Loop: Header=BB0_2 Depth=1
	v_cvt_f32_u32_e32 v4, s28
	s_sub_i32 s30, 0, s28
	v_rcp_iflag_f32_e32 v4, v4
	v_mul_f32_e32 v4, 0x4f7ffffe, v4
	v_cvt_u32_f32_e32 v4, v4
	v_mul_lo_u32 v5, s30, v4
	v_mul_hi_u32 v5, v4, v5
	v_add_u32_e32 v4, v4, v5
	v_mul_hi_u32 v4, v7, v4
	v_mul_lo_u32 v5, v4, s28
	v_add_u32_e32 v6, 1, v4
	v_sub_u32_e32 v5, v7, v5
	v_subrev_u32_e32 v11, s28, v5
	v_cmp_le_u32_e32 vcc, s28, v5
	v_cndmask_b32_e32 v5, v5, v11, vcc
	v_cndmask_b32_e32 v4, v4, v6, vcc
	v_add_u32_e32 v6, 1, v4
	v_cmp_le_u32_e32 vcc, s28, v5
	v_cndmask_b32_e32 v5, v4, v6, vcc
	v_mov_b32_e32 v6, v3
.LBB0_6:                                ;   in Loop: Header=BB0_2 Depth=1
	s_or_b64 exec, exec, s[0:1]
	v_mul_lo_u32 v4, v6, s28
	v_mul_lo_u32 v13, v5, s29
	v_mad_u64_u32 v[11:12], s[0:1], v5, s28, 0
	s_load_dwordx2 s[0:1], s[22:23], 0x0
	s_load_dwordx2 s[28:29], s[6:7], 0x0
	v_add3_u32 v4, v12, v13, v4
	v_sub_co_u32_e32 v7, vcc, v7, v11
	v_subb_co_u32_e32 v4, vcc, v8, v4, vcc
	s_waitcnt lgkmcnt(0)
	v_mul_lo_u32 v8, s0, v4
	v_mul_lo_u32 v11, s1, v7
	v_mad_u64_u32 v[9:10], s[0:1], s0, v7, v[9:10]
	s_add_u32 s26, s26, 1
	s_addc_u32 s27, s27, 0
	s_add_u32 s6, s6, 8
	v_mul_lo_u32 v4, s28, v4
	v_mul_lo_u32 v12, s29, v7
	v_mad_u64_u32 v[1:2], s[0:1], s28, v7, v[1:2]
	v_add3_u32 v10, v11, v10, v8
	s_addc_u32 s7, s7, 0
	v_mov_b32_e32 v7, s14
	s_add_u32 s22, s22, 8
	v_mov_b32_e32 v8, s15
	s_addc_u32 s23, s23, 0
	v_cmp_ge_u64_e32 vcc, s[26:27], v[7:8]
	s_add_u32 s24, s24, 8
	v_add3_u32 v2, v12, v2, v4
	s_addc_u32 s25, s25, 0
	s_cbranch_vccnz .LBB0_9
; %bb.7:                                ;   in Loop: Header=BB0_2 Depth=1
	v_mov_b32_e32 v8, v6
	v_mov_b32_e32 v7, v5
	s_branch .LBB0_2
.LBB0_8:
	v_mov_b32_e32 v1, v9
	v_mov_b32_e32 v5, v7
	;; [unrolled: 1-line block ×4, first 2 shown]
.LBB0_9:
	s_load_dwordx2 s[0:1], s[4:5], 0x28
	s_lshl_b64 s[14:15], s[14:15], 3
	s_add_u32 s4, s18, s14
	s_addc_u32 s5, s19, s15
                                        ; implicit-def: $vgpr3
	s_waitcnt lgkmcnt(0)
	v_cmp_gt_u64_e32 vcc, s[0:1], v[5:6]
	v_cmp_le_u64_e64 s[0:1], s[0:1], v[5:6]
	s_and_saveexec_b64 s[6:7], s[0:1]
	s_xor_b64 s[0:1], exec, s[6:7]
; %bb.10:
	s_mov_b32 s6, 0x1681682
	v_mul_hi_u32 v3, v0, s6
                                        ; implicit-def: $vgpr9_vgpr10
	v_mul_u32_u24_e32 v3, 0xb6, v3
	v_sub_u32_e32 v3, v0, v3
                                        ; implicit-def: $vgpr0
; %bb.11:
	s_or_saveexec_b64 s[6:7], s[0:1]
                                        ; implicit-def: $vgpr20
                                        ; implicit-def: $vgpr22
                                        ; implicit-def: $vgpr29
                                        ; implicit-def: $vgpr8
                                        ; implicit-def: $vgpr33
                                        ; implicit-def: $vgpr24
                                        ; implicit-def: $vgpr35
                                        ; implicit-def: $vgpr27
                                        ; implicit-def: $vgpr37
                                        ; implicit-def: $vgpr31
	s_xor_b64 exec, exec, s[6:7]
	s_cbranch_execz .LBB0_13
; %bb.12:
	s_add_u32 s0, s16, s14
	s_mov_b32 s14, 0x1681682
	v_mul_hi_u32 v3, v0, s14
	s_addc_u32 s1, s17, s15
	s_load_dwordx2 s[0:1], s[0:1], 0x0
	v_lshlrev_b64 v[9:10], 3, v[9:10]
	v_mul_u32_u24_e32 v3, 0xb6, v3
	v_sub_u32_e32 v3, v0, v3
	v_mad_u64_u32 v[7:8], s[14:15], s2, v3, 0
	s_waitcnt lgkmcnt(0)
	v_mul_lo_u32 v4, s1, v5
	v_mul_lo_u32 v15, s0, v6
	v_mad_u64_u32 v[11:12], s[0:1], s0, v5, 0
	v_mov_b32_e32 v0, v8
	v_mad_u64_u32 v[13:14], s[0:1], s3, v3, v[0:1]
	v_add3_u32 v12, v12, v15, v4
	v_lshlrev_b64 v[11:12], 3, v[11:12]
	v_mov_b32_e32 v8, v13
	v_mov_b32_e32 v0, s9
	v_add_co_u32_e64 v4, s[0:1], s8, v11
	v_add_u32_e32 v13, 0xb6, v3
	v_addc_co_u32_e64 v0, s[0:1], v0, v12, s[0:1]
	v_mad_u64_u32 v[11:12], s[0:1], s2, v13, 0
	v_add_co_u32_e64 v4, s[0:1], v4, v9
	v_addc_co_u32_e64 v19, s[0:1], v0, v10, s[0:1]
	v_mov_b32_e32 v0, v12
	v_mad_u64_u32 v[9:10], s[0:1], s3, v13, v[0:1]
	v_add_u32_e32 v10, 0x16c, v3
	v_mad_u64_u32 v[13:14], s[0:1], s2, v10, 0
	v_lshlrev_b64 v[7:8], 3, v[7:8]
	v_mov_b32_e32 v12, v9
	v_add_co_u32_e64 v15, s[0:1], v4, v7
	v_mov_b32_e32 v0, v14
	v_addc_co_u32_e64 v16, s[0:1], v19, v8, s[0:1]
	v_lshlrev_b64 v[7:8], 3, v[11:12]
	v_mad_u64_u32 v[9:10], s[0:1], s3, v10, v[0:1]
	v_add_u32_e32 v12, 0x222, v3
	v_mad_u64_u32 v[10:11], s[0:1], s2, v12, 0
	v_add_co_u32_e64 v17, s[0:1], v4, v7
	v_mov_b32_e32 v0, v11
	v_addc_co_u32_e64 v18, s[0:1], v19, v8, s[0:1]
	v_mov_b32_e32 v14, v9
	v_mad_u64_u32 v[11:12], s[0:1], s3, v12, v[0:1]
	v_add_u32_e32 v9, 0x2d8, v3
	v_lshlrev_b64 v[7:8], 3, v[13:14]
	v_mad_u64_u32 v[12:13], s[0:1], s2, v9, 0
	v_add_co_u32_e64 v38, s[0:1], v4, v7
	v_mov_b32_e32 v0, v13
	v_addc_co_u32_e64 v39, s[0:1], v19, v8, s[0:1]
	v_lshlrev_b64 v[7:8], 3, v[10:11]
	v_mad_u64_u32 v[9:10], s[0:1], s3, v9, v[0:1]
	v_add_u32_e32 v14, 0x38e, v3
	v_mad_u64_u32 v[10:11], s[0:1], s2, v14, 0
	v_add_co_u32_e64 v40, s[0:1], v4, v7
	v_mov_b32_e32 v13, v9
	v_mov_b32_e32 v0, v11
	v_addc_co_u32_e64 v41, s[0:1], v19, v8, s[0:1]
	v_lshlrev_b64 v[7:8], 3, v[12:13]
	v_mad_u64_u32 v[11:12], s[0:1], s3, v14, v[0:1]
	v_add_u32_e32 v9, 0x444, v3
	v_mad_u64_u32 v[12:13], s[0:1], s2, v9, 0
	v_add_co_u32_e64 v42, s[0:1], v4, v7
	v_mov_b32_e32 v0, v13
	v_addc_co_u32_e64 v43, s[0:1], v19, v8, s[0:1]
	v_lshlrev_b64 v[7:8], 3, v[10:11]
	v_mad_u64_u32 v[9:10], s[0:1], s3, v9, v[0:1]
	v_add_u32_e32 v14, 0x4fa, v3
	v_mad_u64_u32 v[10:11], s[0:1], s2, v14, 0
	v_add_co_u32_e64 v44, s[0:1], v4, v7
	v_mov_b32_e32 v13, v9
	v_mov_b32_e32 v0, v11
	v_addc_co_u32_e64 v45, s[0:1], v19, v8, s[0:1]
	v_lshlrev_b64 v[7:8], 3, v[12:13]
	v_mad_u64_u32 v[11:12], s[0:1], s3, v14, v[0:1]
	v_add_u32_e32 v9, 0x5b0, v3
	v_mad_u64_u32 v[12:13], s[0:1], s2, v9, 0
	v_add_co_u32_e64 v46, s[0:1], v4, v7
	v_mov_b32_e32 v0, v13
	v_addc_co_u32_e64 v47, s[0:1], v19, v8, s[0:1]
	v_lshlrev_b64 v[7:8], 3, v[10:11]
	v_mad_u64_u32 v[9:10], s[0:1], s3, v9, v[0:1]
	v_add_u32_e32 v14, 0x666, v3
	v_mad_u64_u32 v[10:11], s[0:1], s2, v14, 0
	v_add_co_u32_e64 v48, s[0:1], v4, v7
	v_mov_b32_e32 v13, v9
	v_mov_b32_e32 v0, v11
	v_addc_co_u32_e64 v49, s[0:1], v19, v8, s[0:1]
	v_lshlrev_b64 v[7:8], 3, v[12:13]
	v_mad_u64_u32 v[11:12], s[0:1], s3, v14, v[0:1]
	v_add_co_u32_e64 v12, s[0:1], v4, v7
	v_addc_co_u32_e64 v13, s[0:1], v19, v8, s[0:1]
	v_lshlrev_b64 v[7:8], 3, v[10:11]
	v_add_co_u32_e64 v9, s[0:1], v4, v7
	v_addc_co_u32_e64 v10, s[0:1], v19, v8, s[0:1]
	global_load_dwordx2 v[19:20], v[15:16], off
	global_load_dwordx2 v[21:22], v[17:18], off
	;; [unrolled: 1-line block ×10, first 2 shown]
.LBB0_13:
	s_or_b64 exec, exec, s[6:7]
	s_waitcnt vmcnt(3)
	v_add_f32_e32 v4, v32, v34
	v_fma_f32 v17, -0.5, v4, v19
	s_waitcnt vmcnt(1)
	v_sub_f32_e32 v4, v29, v37
	v_mov_b32_e32 v11, v17
	v_sub_f32_e32 v9, v28, v32
	v_sub_f32_e32 v10, v36, v34
	v_fmac_f32_e32 v11, 0xbf737871, v4
	v_add_f32_e32 v9, v9, v10
	v_sub_f32_e32 v10, v33, v35
	v_fmac_f32_e32 v17, 0x3f737871, v4
	v_fmac_f32_e32 v11, 0xbf167918, v10
	;; [unrolled: 1-line block ×5, first 2 shown]
	v_add_f32_e32 v9, v28, v36
	v_add_f32_e32 v0, v19, v28
	v_fmac_f32_e32 v19, -0.5, v9
	v_mov_b32_e32 v13, v19
	v_sub_f32_e32 v9, v32, v28
	v_sub_f32_e32 v12, v34, v36
	v_fmac_f32_e32 v13, 0x3f737871, v10
	v_fmac_f32_e32 v19, 0xbf737871, v10
	v_add_f32_e32 v9, v9, v12
	v_fmac_f32_e32 v13, 0xbf167918, v4
	v_fmac_f32_e32 v19, 0x3f167918, v4
	;; [unrolled: 1-line block ×4, first 2 shown]
	v_sub_f32_e32 v4, v7, v23
	s_waitcnt vmcnt(0)
	v_sub_f32_e32 v9, v30, v26
	v_add_f32_e32 v9, v4, v9
	v_add_f32_e32 v4, v23, v26
	v_fma_f32 v4, -0.5, v4, v21
	v_sub_f32_e32 v10, v8, v31
	v_mov_b32_e32 v38, v4
	v_fmac_f32_e32 v38, 0xbf737871, v10
	v_sub_f32_e32 v12, v24, v27
	v_fmac_f32_e32 v4, 0x3f737871, v10
	v_fmac_f32_e32 v38, 0xbf167918, v12
	;; [unrolled: 1-line block ×3, first 2 shown]
	v_add_f32_e32 v14, v7, v30
	v_fmac_f32_e32 v38, 0x3e9e377a, v9
	v_fmac_f32_e32 v4, 0x3e9e377a, v9
	v_add_f32_e32 v9, v21, v7
	v_fmac_f32_e32 v21, -0.5, v14
	v_mov_b32_e32 v39, v21
	v_fmac_f32_e32 v39, 0x3f737871, v12
	v_fmac_f32_e32 v21, 0xbf737871, v12
	;; [unrolled: 1-line block ×4, first 2 shown]
	v_sub_f32_e32 v10, v8, v24
	v_sub_f32_e32 v12, v31, v27
	v_add_f32_e32 v10, v10, v12
	v_add_f32_e32 v12, v24, v27
	v_fma_f32 v40, -0.5, v12, v22
	v_sub_f32_e32 v14, v23, v7
	v_sub_f32_e32 v7, v7, v30
	v_mov_b32_e32 v41, v40
	v_sub_f32_e32 v15, v26, v30
	v_fmac_f32_e32 v41, 0x3f737871, v7
	v_sub_f32_e32 v12, v23, v26
	v_fmac_f32_e32 v40, 0xbf737871, v7
	v_add_f32_e32 v14, v14, v15
	v_fmac_f32_e32 v41, 0x3f167918, v12
	v_fmac_f32_e32 v40, 0xbf167918, v12
	;; [unrolled: 1-line block ×6, first 2 shown]
	v_sub_f32_e32 v10, v24, v8
	v_sub_f32_e32 v14, v27, v31
	v_add_f32_e32 v10, v10, v14
	v_add_f32_e32 v14, v8, v31
	v_fma_f32 v42, -0.5, v14, v22
	v_mov_b32_e32 v43, v42
	v_fmac_f32_e32 v43, 0xbf737871, v12
	v_fmac_f32_e32 v42, 0x3f737871, v12
	;; [unrolled: 1-line block ×4, first 2 shown]
	v_add_f32_e32 v0, v0, v32
	v_add_f32_e32 v7, v9, v23
	s_load_dwordx2 s[4:5], s[4:5], 0x0
	v_fmac_f32_e32 v43, 0x3e9e377a, v10
	v_fmac_f32_e32 v42, 0x3e9e377a, v10
	v_add_f32_e32 v0, v0, v34
	v_add_f32_e32 v7, v7, v26
	v_add_f32_e32 v0, v0, v36
	v_add_f32_e32 v7, v7, v30
	v_mul_f32_e32 v12, 0xbf167918, v41
	v_mul_f32_e32 v14, 0xbf737871, v43
	;; [unrolled: 1-line block ×4, first 2 shown]
	v_fmac_f32_e32 v12, 0x3f4f1bbd, v38
	v_add_f32_e32 v9, v0, v7
	v_fmac_f32_e32 v14, 0x3e9e377a, v39
	v_fmac_f32_e32 v23, 0xbe9e377a, v21
	;; [unrolled: 1-line block ×3, first 2 shown]
	v_sub_f32_e32 v16, v0, v7
	v_mul_u32_u24_e32 v0, 10, v3
	s_movk_i32 s0, 0x8c
	v_add_f32_e32 v10, v11, v12
	v_sub_f32_e32 v11, v11, v12
	v_sub_f32_e32 v12, v13, v14
	v_add_f32_e32 v13, v13, v14
	v_add_f32_e32 v14, v19, v23
	;; [unrolled: 1-line block ×3, first 2 shown]
	v_sub_f32_e32 v18, v17, v18
	v_sub_f32_e32 v17, v19, v23
	s_mov_b32 s7, 0x3f737871
	s_mov_b32 s6, 0x3f167918
	v_lshl_add_u32 v44, v0, 2, 0
	v_cmp_gt_u32_e64 s[0:1], s0, v3
	ds_write2_b64 v44, v[9:10], v[13:14] offset1:1
	ds_write2_b64 v44, v[15:16], v[11:12] offset0:2 offset1:3
	ds_write_b64 v44, v[17:18] offset:32
	s_waitcnt lgkmcnt(0)
	s_barrier
	s_waitcnt lgkmcnt(0)
                                        ; implicit-def: $vgpr0
                                        ; implicit-def: $vgpr26
	s_and_saveexec_b64 s[2:3], s[0:1]
	s_cbranch_execz .LBB0_15
; %bb.14:
	s_movk_i32 s8, 0xffdc
	v_mad_i32_i24 v0, v3, s8, v44
	v_add_u32_e32 v7, 0x400, v0
	ds_read2_b32 v[13:14], v7 offset0:24 offset1:164
	v_add_u32_e32 v7, 0x800, v0
	ds_read2_b32 v[15:16], v7 offset0:48 offset1:188
	v_add_u32_e32 v7, 0xc00, v0
	ds_read2_b32 v[11:12], v7 offset0:72 offset1:212
	v_add_u32_e32 v7, 0x1000, v0
	ds_read2_b32 v[17:18], v7 offset0:96 offset1:236
	v_add_u32_e32 v7, 0x1500, v0
	ds_read2_b32 v[9:10], v0 offset1:140
	ds_read2_b32 v[25:26], v7 offset0:56 offset1:196
	ds_read_b32 v0, v0 offset:6720
.LBB0_15:
	s_or_b64 exec, exec, s[2:3]
	v_add_f32_e32 v7, v20, v29
	v_add_f32_e32 v7, v7, v33
	;; [unrolled: 1-line block ×5, first 2 shown]
	v_fma_f32 v45, -0.5, v7, v20
	v_sub_f32_e32 v7, v28, v36
	v_mov_b32_e32 v30, v45
	v_fmac_f32_e32 v30, 0x3f737871, v7
	v_sub_f32_e32 v23, v32, v34
	v_sub_f32_e32 v28, v29, v33
	;; [unrolled: 1-line block ×3, first 2 shown]
	v_fmac_f32_e32 v45, 0xbf737871, v7
	v_fmac_f32_e32 v30, 0x3f167918, v23
	v_add_f32_e32 v28, v28, v32
	v_fmac_f32_e32 v45, 0xbf167918, v23
	v_fmac_f32_e32 v30, 0x3e9e377a, v28
	;; [unrolled: 1-line block ×3, first 2 shown]
	v_add_f32_e32 v28, v29, v37
	v_fmac_f32_e32 v20, -0.5, v28
	v_mov_b32_e32 v32, v20
	v_fmac_f32_e32 v32, 0xbf737871, v23
	v_fmac_f32_e32 v20, 0x3f737871, v23
	;; [unrolled: 1-line block ×4, first 2 shown]
	v_add_f32_e32 v7, v22, v8
	v_add_f32_e32 v7, v7, v24
	v_sub_f32_e32 v28, v33, v29
	v_sub_f32_e32 v29, v35, v37
	v_add_f32_e32 v7, v7, v27
	v_add_f32_e32 v28, v28, v29
	;; [unrolled: 1-line block ×3, first 2 shown]
	v_mul_f32_e32 v29, 0x3f4f1bbd, v41
	v_mul_f32_e32 v31, 0x3f737871, v39
	;; [unrolled: 1-line block ×4, first 2 shown]
	v_fmac_f32_e32 v32, 0x3e9e377a, v28
	v_fmac_f32_e32 v20, 0x3e9e377a, v28
	;; [unrolled: 1-line block ×4, first 2 shown]
	v_fma_f32 v21, v21, s7, -v23
	v_fma_f32 v4, v4, s6, -v27
	v_add_f32_e32 v7, v19, v24
	v_add_f32_e32 v8, v30, v29
	;; [unrolled: 1-line block ×5, first 2 shown]
	v_sub_f32_e32 v28, v19, v24
	v_sub_f32_e32 v29, v30, v29
	;; [unrolled: 1-line block ×5, first 2 shown]
	s_waitcnt lgkmcnt(0)
	s_barrier
	ds_write2_b64 v44, v[7:8], v[22:23] offset1:1
	ds_write2_b64 v44, v[27:28], v[29:30] offset0:2 offset1:3
	ds_write_b64 v44, v[19:20] offset:32
	s_waitcnt lgkmcnt(0)
	s_barrier
	s_waitcnt lgkmcnt(0)
                                        ; implicit-def: $vgpr32
                                        ; implicit-def: $vgpr38
	s_and_saveexec_b64 s[2:3], s[0:1]
	s_cbranch_execz .LBB0_17
; %bb.16:
	s_movk_i32 s6, 0xffdc
	v_mad_i32_i24 v4, v3, s6, v44
	v_add_u32_e32 v19, 0x400, v4
	ds_read2_b32 v[22:23], v19 offset0:24 offset1:164
	v_add_u32_e32 v19, 0x800, v4
	ds_read2_b32 v[27:28], v19 offset0:48 offset1:188
	v_add_u32_e32 v19, 0xc00, v4
	ds_read2_b32 v[29:30], v19 offset0:72 offset1:212
	v_add_u32_e32 v19, 0x1000, v4
	v_add_u32_e32 v21, 0x1500, v4
	ds_read2_b32 v[7:8], v4 offset1:140
	ds_read2_b32 v[19:20], v19 offset0:96 offset1:236
	ds_read2_b32 v[31:32], v21 offset0:56 offset1:196
	ds_read_b32 v38, v4 offset:6720
.LBB0_17:
	s_or_b64 exec, exec, s[2:3]
	s_movk_i32 s2, 0xcd
	v_mul_lo_u16_sdwa v4, v3, s2 dst_sel:DWORD dst_unused:UNUSED_PAD src0_sel:BYTE_0 src1_sel:DWORD
	v_lshrrev_b16_e32 v4, 11, v4
	v_mul_lo_u16_e32 v21, 10, v4
	v_sub_u16_e32 v21, v3, v21
	v_mov_b32_e32 v24, 12
	v_mul_u32_u24_sdwa v24, v21, v24 dst_sel:DWORD dst_unused:UNUSED_PAD src0_sel:BYTE_0 src1_sel:DWORD
	v_lshlrev_b32_e32 v24, 3, v24
	global_load_dwordx4 v[48:51], v24, s[12:13]
	global_load_dwordx4 v[52:55], v24, s[12:13] offset:16
	global_load_dwordx4 v[56:59], v24, s[12:13] offset:32
	;; [unrolled: 1-line block ×5, first 2 shown]
	s_mov_b32 s6, 0x3f62ad3f
	s_mov_b32 s2, 0x3df6dbef
	s_mov_b32 s3, 0x3f116cb1
	s_mov_b32 s8, 0xbf788fa5
	s_mov_b32 s7, 0xbeb58ec6
	s_mov_b32 s9, 0xbf3f9e67
	s_waitcnt vmcnt(0) lgkmcnt(0)
	s_barrier
	v_mul_f32_e32 v24, v10, v49
	v_mul_f32_e32 v42, v23, v53
	;; [unrolled: 1-line block ×23, first 2 shown]
	v_fma_f32 v24, v8, v48, -v24
	v_fmac_f32_e32 v43, v25, v66
	v_fma_f32 v25, v38, v70, -v65
	v_mul_f32_e32 v45, v32, v69
	v_fmac_f32_e32 v46, v10, v48
	v_fma_f32 v22, v22, v50, -v40
	v_fmac_f32_e32 v39, v18, v64
	v_fma_f32 v18, v20, v64, -v59
	v_fma_f32 v20, v32, v68, -v63
	v_fmac_f32_e32 v47, v0, v70
	v_sub_f32_e32 v8, v24, v25
	v_fmac_f32_e32 v44, v13, v50
	v_fmac_f32_e32 v36, v17, v62
	v_fma_f32 v17, v19, v62, -v57
	v_fma_f32 v19, v31, v66, -v61
	v_fmac_f32_e32 v45, v26, v68
	v_add_f32_e32 v70, v46, v47
	v_sub_f32_e32 v10, v22, v20
	v_mul_f32_e32 v0, 0xbeedf032, v8
	v_mul_f32_e32 v31, 0xbf7e222b, v8
	v_fmac_f32_e32 v37, v15, v54
	v_fma_f32 v15, v27, v54, -v49
	v_fmac_f32_e32 v35, v16, v56
	v_fma_f32 v16, v28, v56, -v51
	;; [unrolled: 2-line block ×4, first 2 shown]
	v_add_f32_e32 v60, v44, v45
	v_mul_f32_e32 v29, 0xbf52af12, v8
	v_mul_f32_e32 v26, 0xbf52af12, v10
	;; [unrolled: 1-line block ×3, first 2 shown]
	v_fma_f32 v11, v70, s6, -v0
	v_fma_f32 v38, v70, s2, -v31
	v_mul_f32_e32 v72, 0xbe750f2a, v8
	v_mul_f32_e32 v30, 0xbf6f5d39, v10
	;; [unrolled: 1-line block ×3, first 2 shown]
	v_fma_f32 v12, v70, s3, -v29
	v_fma_f32 v13, v60, s3, -v26
	;; [unrolled: 1-line block ×3, first 2 shown]
	v_add_f32_e32 v11, v9, v11
	v_add_f32_e32 v38, v9, v38
	v_mul_f32_e32 v58, 0xbf29c268, v8
	v_fma_f32 v8, v70, s8, -v72
	v_mul_f32_e32 v71, 0x3eedf032, v10
	v_fmac_f32_e32 v42, v14, v52
	v_fma_f32 v23, v23, v52, -v41
	v_mul_f32_e32 v41, 0x3f29c268, v10
	v_fma_f32 v14, v60, s7, -v30
	v_fma_f32 v49, v70, s7, -v40
	v_add_f32_e32 v12, v9, v12
	v_add_f32_e32 v11, v13, v11
	;; [unrolled: 1-line block ×3, first 2 shown]
	v_fma_f32 v38, v70, s9, -v58
	v_mul_f32_e32 v57, 0x3f7e222b, v10
	v_add_f32_e32 v8, v9, v8
	v_fma_f32 v10, v60, s6, -v71
	v_add_f32_e32 v49, v9, v49
	v_add_f32_e32 v12, v14, v12
	v_fma_f32 v14, v60, s9, -v41
	v_add_f32_e32 v38, v9, v38
	v_fma_f32 v48, v60, s2, -v57
	v_add_f32_e32 v8, v10, v8
	v_sub_f32_e32 v10, v23, v19
	v_add_f32_e32 v14, v14, v49
	v_add_f32_e32 v49, v48, v38
	;; [unrolled: 1-line block ×3, first 2 shown]
	v_mul_f32_e32 v38, 0xbf7e222b, v10
	v_fma_f32 v48, v64, s2, -v38
	v_add_f32_e32 v11, v48, v11
	v_mul_f32_e32 v48, 0xbe750f2a, v10
	v_fma_f32 v50, v64, s8, -v48
	v_add_f32_e32 v12, v50, v12
	v_mul_f32_e32 v50, 0x3f6f5d39, v10
	v_fma_f32 v51, v64, s7, -v50
	v_mul_f32_e32 v53, 0x3eedf032, v10
	v_mul_f32_e32 v76, 0xbf29c268, v10
	v_add_f32_e32 v13, v51, v13
	v_fma_f32 v51, v64, s6, -v53
	v_mul_f32_e32 v62, 0xbf52af12, v10
	v_fma_f32 v10, v64, s9, -v76
	v_add_f32_e32 v14, v51, v14
	v_fma_f32 v51, v64, s3, -v62
	v_add_f32_e32 v8, v10, v8
	v_sub_f32_e32 v10, v15, v18
	v_add_f32_e32 v52, v51, v49
	v_add_f32_e32 v66, v37, v39
	v_mul_f32_e32 v49, 0xbf6f5d39, v10
	v_fma_f32 v51, v66, s7, -v49
	v_add_f32_e32 v11, v51, v11
	v_mul_f32_e32 v51, 0x3f29c268, v10
	v_fma_f32 v54, v66, s9, -v51
	;; [unrolled: 3-line block ×3, first 2 shown]
	v_mul_f32_e32 v59, 0xbf7e222b, v10
	v_mul_f32_e32 v78, 0x3f52af12, v10
	v_add_f32_e32 v13, v55, v13
	v_fma_f32 v55, v66, s2, -v59
	v_mul_f32_e32 v68, 0x3e750f2a, v10
	v_fma_f32 v10, v66, s3, -v78
	v_add_f32_e32 v14, v55, v14
	v_fma_f32 v55, v66, s8, -v68
	v_add_f32_e32 v8, v10, v8
	v_sub_f32_e32 v10, v16, v17
	v_add_f32_e32 v56, v55, v52
	v_add_f32_e32 v69, v35, v36
	v_mul_f32_e32 v52, 0xbf29c268, v10
	v_fma_f32 v55, v69, s9, -v52
	v_add_f32_e32 v11, v55, v11
	v_mul_f32_e32 v55, 0x3f7e222b, v10
	v_fma_f32 v61, v69, s2, -v55
	;; [unrolled: 3-line block ×3, first 2 shown]
	v_mul_f32_e32 v65, 0x3e750f2a, v10
	v_add_f32_e32 v13, v63, v13
	v_fma_f32 v63, v69, s8, -v65
	v_mul_f32_e32 v74, 0x3eedf032, v10
	v_add_f32_e32 v14, v63, v14
	v_fma_f32 v63, v69, s6, -v74
	v_mul_f32_e32 v79, 0xbf6f5d39, v10
	v_sub_f32_e32 v81, v27, v28
	v_add_f32_e32 v80, v63, v56
	v_fma_f32 v10, v69, s7, -v79
	v_add_f32_e32 v75, v33, v34
	v_mul_f32_e32 v56, 0xbe750f2a, v81
	v_add_f32_e32 v8, v10, v8
	v_fma_f32 v10, v75, s8, -v56
	v_mul_f32_e32 v63, 0x3eedf032, v81
	v_add_f32_e32 v10, v10, v11
	v_fma_f32 v11, v75, s6, -v63
	v_mul_f32_e32 v67, 0xbf29c268, v81
	v_add_f32_e32 v11, v11, v12
	v_fma_f32 v12, v75, s9, -v67
	v_mul_f32_e32 v73, 0x3f52af12, v81
	v_add_f32_e32 v12, v12, v13
	v_fma_f32 v13, v75, s3, -v73
	v_mul_f32_e32 v77, 0xbf6f5d39, v81
	v_add_f32_e32 v13, v13, v14
	v_fma_f32 v14, v75, s7, -v77
	v_add_f32_e32 v14, v14, v80
	v_mul_f32_e32 v80, 0x3f7e222b, v81
	v_fma_f32 v81, v75, s2, -v80
	v_add_f32_e32 v8, v81, v8
	s_and_saveexec_b64 s[2:3], s[0:1]
	s_cbranch_execz .LBB0_19
; %bb.18:
	v_mul_f32_e32 v81, 0x3f62ad3f, v70
	v_mul_f32_e32 v82, 0x3f116cb1, v70
	;; [unrolled: 1-line block ×10, first 2 shown]
	v_add_f32_e32 v70, v70, v72
	v_mul_f32_e32 v72, 0x3df6dbef, v60
	v_mul_f32_e32 v60, 0x3f62ad3f, v60
	v_add_f32_e32 v60, v60, v71
	v_add_f32_e32 v70, v9, v70
	;; [unrolled: 1-line block ×3, first 2 shown]
	v_mul_f32_e32 v70, 0xbf3f9e67, v64
	v_add_f32_e32 v70, v70, v76
	v_add_f32_e32 v60, v70, v60
	v_mul_f32_e32 v70, 0x3f116cb1, v66
	v_add_f32_e32 v58, v85, v58
	v_add_f32_e32 v40, v84, v40
	;; [unrolled: 1-line block ×13, first 2 shown]
	v_mul_f32_e32 v70, 0xbeb58ec6, v69
	v_add_f32_e32 v9, v9, v44
	v_add_f32_e32 v70, v70, v79
	;; [unrolled: 1-line block ×4, first 2 shown]
	v_mul_f32_e32 v70, 0x3df6dbef, v75
	v_add_f32_e32 v9, v9, v37
	v_mul_f32_e32 v71, 0x3df6dbef, v64
	v_mul_f32_e32 v76, 0xbf788fa5, v64
	;; [unrolled: 1-line block ×5, first 2 shown]
	v_add_f32_e32 v70, v70, v80
	v_add_f32_e32 v57, v72, v57
	;; [unrolled: 1-line block ×4, first 2 shown]
	v_mul_f32_e32 v80, 0xbeb58ec6, v66
	v_add_f32_e32 v60, v70, v60
	v_mul_f32_e32 v70, 0xbf3f9e67, v66
	v_mul_f32_e32 v85, 0x3f62ad3f, v66
	;; [unrolled: 1-line block ×4, first 2 shown]
	v_add_f32_e32 v57, v57, v58
	v_add_f32_e32 v62, v64, v62
	;; [unrolled: 1-line block ×6, first 2 shown]
	v_mul_f32_e32 v58, 0xbf3f9e67, v69
	v_mul_f32_e32 v64, 0x3df6dbef, v69
	v_add_f32_e32 v57, v62, v57
	v_mul_f32_e32 v62, 0x3f116cb1, v69
	v_add_f32_e32 v66, v66, v68
	v_mul_f32_e32 v68, 0xbf788fa5, v69
	v_mul_f32_e32 v69, 0x3f62ad3f, v69
	v_add_f32_e32 v29, v30, v29
	v_add_f32_e32 v30, v70, v51
	;; [unrolled: 1-line block ×6, first 2 shown]
	v_mul_f32_e32 v74, 0x3f62ad3f, v75
	v_add_f32_e32 v41, v89, v41
	v_add_f32_e32 v32, v88, v32
	;; [unrolled: 1-line block ×8, first 2 shown]
	v_mul_f32_e32 v66, 0xbf788fa5, v75
	v_add_f32_e32 v40, v41, v40
	v_add_f32_e32 v41, v79, v53
	;; [unrolled: 1-line block ×10, first 2 shown]
	v_mul_f32_e32 v69, 0xbeb58ec6, v75
	v_add_f32_e32 v40, v41, v40
	v_add_f32_e32 v41, v72, v59
	;; [unrolled: 1-line block ×8, first 2 shown]
	v_mov_b32_e32 v30, 2
	v_add_f32_e32 v69, v69, v77
	v_mul_f32_e32 v77, 0xbf3f9e67, v75
	v_mul_f32_e32 v75, 0x3f116cb1, v75
	v_add_f32_e32 v40, v41, v40
	v_add_f32_e32 v41, v68, v65
	v_add_f32_e32 v31, v32, v31
	v_add_f32_e32 v32, v62, v61
	v_add_f32_e32 v0, v26, v0
	v_add_f32_e32 v9, v9, v45
	v_mul_u32_u24_e32 v26, 0x208, v4
	v_lshlrev_b32_sdwa v30, v30, v21 dst_sel:DWORD dst_unused:UNUSED_PAD src0_sel:DWORD src1_sel:BYTE_0
	v_add_f32_e32 v40, v41, v40
	v_add_f32_e32 v41, v75, v73
	v_add_f32_e32 v31, v32, v31
	v_add_f32_e32 v32, v77, v67
	v_add_f32_e32 v9, v9, v47
	v_add3_u32 v26, 0, v26, v30
	v_add_f32_e32 v57, v69, v57
	v_add_f32_e32 v40, v41, v40
	;; [unrolled: 1-line block ×3, first 2 shown]
	ds_write2_b32 v26, v9, v0 offset1:10
	ds_write2_b32 v26, v29, v31 offset0:20 offset1:30
	ds_write2_b32 v26, v40, v57 offset0:40 offset1:50
	;; [unrolled: 1-line block ×5, first 2 shown]
	ds_write_b32 v26, v10 offset:480
.LBB0_19:
	s_or_b64 exec, exec, s[2:3]
	v_lshl_add_u32 v0, v3, 2, 0
	s_waitcnt lgkmcnt(0)
	s_barrier
	ds_read_b32 v9, v0
	ds_read_b32 v41, v0 offset:1040
	ds_read_b32 v40, v0 offset:2080
	;; [unrolled: 1-line block ×6, first 2 shown]
	s_movk_i32 s2, 0x4e
	v_cmp_gt_u32_e64 s[2:3], s2, v3
                                        ; implicit-def: $vgpr29
	s_and_saveexec_b64 s[6:7], s[2:3]
	s_cbranch_execz .LBB0_21
; %bb.20:
	ds_read_b32 v8, v0 offset:728
	ds_read_b32 v14, v0 offset:1768
	;; [unrolled: 1-line block ×7, first 2 shown]
.LBB0_21:
	s_or_b64 exec, exec, s[6:7]
	v_add_f32_e32 v26, v24, v25
	v_sub_f32_e32 v60, v46, v47
	v_mul_f32_e32 v46, 0x3f62ad3f, v26
	v_add_f32_e32 v57, v22, v20
	v_mov_b32_e32 v47, v46
	v_sub_f32_e32 v70, v44, v45
	v_mul_f32_e32 v44, 0x3f116cb1, v57
	v_fmac_f32_e32 v47, 0xbeedf032, v60
	v_mov_b32_e32 v45, v44
	v_add_f32_e32 v52, v7, v47
	v_mul_f32_e32 v47, 0x3f116cb1, v26
	v_fmac_f32_e32 v45, 0xbf52af12, v70
	v_mov_b32_e32 v48, v47
	v_add_f32_e32 v58, v45, v52
	;; [unrolled: 4-line block ×9, first 2 shown]
	v_add_f32_e32 v56, v7, v51
	v_mul_f32_e32 v51, 0xbf788fa5, v26
	v_fmac_f32_e32 v55, 0x3f7e222b, v70
	v_sub_f32_e32 v79, v42, v43
	v_mul_f32_e32 v42, 0x3df6dbef, v64
	v_mov_b32_e32 v26, v51
	v_add_f32_e32 v63, v55, v56
	v_mul_f32_e32 v55, 0x3f62ad3f, v57
	v_mov_b32_e32 v43, v42
	v_fmac_f32_e32 v26, 0xbe750f2a, v60
	v_mov_b32_e32 v56, v55
	v_fmac_f32_e32 v43, 0xbf7e222b, v79
	v_add_f32_e32 v26, v7, v26
	v_fmac_f32_e32 v56, 0x3eedf032, v70
	v_add_f32_e32 v65, v43, v58
	v_mul_f32_e32 v43, 0xbf788fa5, v64
	v_add_f32_e32 v26, v56, v26
	v_mov_b32_e32 v56, v43
	v_fmac_f32_e32 v56, 0xbe750f2a, v79
	v_add_f32_e32 v66, v56, v59
	v_mul_f32_e32 v56, 0xbeb58ec6, v64
	v_mov_b32_e32 v57, v56
	v_fmac_f32_e32 v57, 0x3f6f5d39, v79
	v_add_f32_e32 v67, v57, v61
	v_mul_f32_e32 v57, 0x3f62ad3f, v64
	;; [unrolled: 4-line block ×4, first 2 shown]
	v_mov_b32_e32 v61, v59
	v_fmac_f32_e32 v61, 0xbf29c268, v79
	v_add_f32_e32 v71, v15, v18
	v_add_f32_e32 v26, v61, v26
	v_mul_f32_e32 v61, 0xbf3f9e67, v71
	v_sub_f32_e32 v80, v37, v39
	v_mov_b32_e32 v62, v61
	v_fmac_f32_e32 v62, 0x3f29c268, v80
	v_add_f32_e32 v72, v62, v66
	v_mul_f32_e32 v62, 0x3f62ad3f, v71
	v_mov_b32_e32 v63, v62
	v_fmac_f32_e32 v63, 0x3eedf032, v80
	v_add_f32_e32 v73, v63, v67
	v_mul_f32_e32 v63, 0x3df6dbef, v71
	v_mul_f32_e32 v39, 0xbeb58ec6, v71
	v_mov_b32_e32 v64, v63
	v_mov_b32_e32 v37, v39
	v_fmac_f32_e32 v64, 0xbf7e222b, v80
	v_fmac_f32_e32 v37, 0xbf6f5d39, v80
	v_add_f32_e32 v74, v64, v68
	v_mul_f32_e32 v64, 0xbf788fa5, v71
	v_add_f32_e32 v37, v37, v65
	v_mov_b32_e32 v65, v64
	v_fmac_f32_e32 v65, 0x3e750f2a, v80
	v_add_f32_e32 v75, v65, v69
	v_mul_f32_e32 v65, 0x3f116cb1, v71
	v_add_f32_e32 v76, v16, v17
	v_mov_b32_e32 v66, v65
	v_mul_f32_e32 v69, 0xbf788fa5, v76
	v_fmac_f32_e32 v66, 0x3f52af12, v80
	v_sub_f32_e32 v81, v35, v36
	v_mul_f32_e32 v67, 0x3df6dbef, v76
	v_mov_b32_e32 v71, v69
	v_add_f32_e32 v26, v66, v26
	v_mul_f32_e32 v66, 0xbf3f9e67, v76
	v_mov_b32_e32 v36, v67
	v_fmac_f32_e32 v71, 0x3e750f2a, v81
	v_mov_b32_e32 v35, v66
	v_fmac_f32_e32 v36, 0x3f7e222b, v81
	v_add_f32_e32 v77, v71, v74
	v_mul_f32_e32 v71, 0x3f62ad3f, v76
	v_fmac_f32_e32 v35, 0xbf29c268, v81
	v_add_f32_e32 v36, v36, v72
	v_mul_f32_e32 v68, 0x3f116cb1, v76
	v_mov_b32_e32 v72, v71
	v_add_f32_e32 v35, v35, v37
	v_mov_b32_e32 v37, v68
	v_fmac_f32_e32 v72, 0x3eedf032, v81
	v_fmac_f32_e32 v37, 0xbf52af12, v81
	v_add_f32_e32 v78, v72, v75
	v_mul_f32_e32 v72, 0xbeb58ec6, v76
	v_add_f32_e32 v37, v37, v73
	v_mov_b32_e32 v73, v72
	v_add_f32_e32 v83, v27, v28
	v_fmac_f32_e32 v73, 0xbf6f5d39, v81
	v_mul_f32_e32 v74, 0x3f62ad3f, v83
	v_add_f32_e32 v26, v73, v26
	v_sub_f32_e32 v82, v33, v34
	v_mul_f32_e32 v73, 0xbf788fa5, v83
	v_mov_b32_e32 v34, v74
	v_mov_b32_e32 v33, v73
	v_fmac_f32_e32 v34, 0x3eedf032, v82
	v_mul_f32_e32 v76, 0x3f116cb1, v83
	v_fmac_f32_e32 v33, 0xbe750f2a, v82
	v_add_f32_e32 v34, v34, v36
	v_mul_f32_e32 v75, 0xbf3f9e67, v83
	v_mov_b32_e32 v36, v76
	v_add_f32_e32 v33, v33, v35
	v_mov_b32_e32 v35, v75
	v_fmac_f32_e32 v36, 0x3f52af12, v82
	v_fmac_f32_e32 v35, 0xbf29c268, v82
	v_add_f32_e32 v36, v36, v77
	v_mul_f32_e32 v77, 0xbeb58ec6, v83
	v_add_f32_e32 v35, v35, v37
	v_mov_b32_e32 v37, v77
	v_fmac_f32_e32 v37, 0xbf6f5d39, v82
	v_add_f32_e32 v37, v37, v78
	v_mul_f32_e32 v78, 0x3df6dbef, v83
	v_mov_b32_e32 v83, v78
	v_fmac_f32_e32 v83, 0x3f7e222b, v82
	v_add_f32_e32 v26, v83, v26
	s_waitcnt lgkmcnt(0)
	s_barrier
	s_and_saveexec_b64 s[6:7], s[0:1]
	s_cbranch_execz .LBB0_23
; %bb.22:
	v_add_f32_e32 v24, v7, v24
	v_add_f32_e32 v22, v24, v22
	;; [unrolled: 1-line block ×9, first 2 shown]
	v_mul_f32_e32 v83, 0xbeedf032, v60
	v_mul_f32_e32 v84, 0xbf52af12, v60
	;; [unrolled: 1-line block ×6, first 2 shown]
	v_add_f32_e32 v15, v15, v19
	v_mul_f32_e32 v88, 0xbf52af12, v70
	v_add_f32_e32 v15, v15, v20
	v_sub_f32_e32 v16, v46, v83
	v_sub_f32_e32 v17, v47, v84
	;; [unrolled: 1-line block ×6, first 2 shown]
	v_mul_f32_e32 v89, 0xbf6f5d39, v70
	v_add_f32_e32 v16, v7, v16
	v_add_f32_e32 v17, v7, v17
	;; [unrolled: 1-line block ×6, first 2 shown]
	v_sub_f32_e32 v22, v44, v88
	v_mul_f32_e32 v90, 0xbe750f2a, v70
	v_add_f32_e32 v16, v22, v16
	v_sub_f32_e32 v22, v45, v89
	v_mul_f32_e32 v91, 0x3f29c268, v70
	v_add_f32_e32 v17, v22, v17
	;; [unrolled: 3-line block ×28, first 2 shown]
	v_sub_f32_e32 v22, v77, v112
	v_add_f32_e32 v20, v22, v20
	v_sub_f32_e32 v22, v78, v82
	v_add_f32_e32 v7, v22, v7
	v_mov_b32_e32 v22, 2
	v_mul_u32_u24_e32 v4, 0x208, v4
	v_lshlrev_b32_sdwa v21, v22, v21 dst_sel:DWORD dst_unused:UNUSED_PAD src0_sel:DWORD src1_sel:BYTE_0
	v_add_f32_e32 v15, v15, v25
	v_add3_u32 v4, 0, v4, v21
	ds_write2_b32 v4, v15, v16 offset1:10
	ds_write2_b32 v4, v17, v18 offset0:20 offset1:30
	ds_write2_b32 v4, v19, v20 offset0:40 offset1:50
	;; [unrolled: 1-line block ×5, first 2 shown]
	ds_write_b32 v4, v33 offset:480
.LBB0_23:
	s_or_b64 exec, exec, s[6:7]
	s_waitcnt lgkmcnt(0)
	s_barrier
	ds_read_b32 v4, v0
	ds_read_b32 v22, v0 offset:1040
	ds_read_b32 v21, v0 offset:2080
	;; [unrolled: 1-line block ×6, first 2 shown]
                                        ; implicit-def: $vgpr45
	s_and_saveexec_b64 s[0:1], s[2:3]
	s_cbranch_execz .LBB0_25
; %bb.24:
	ds_read_b32 v26, v0 offset:728
	ds_read_b32 v37, v0 offset:1768
	;; [unrolled: 1-line block ×7, first 2 shown]
.LBB0_25:
	s_or_b64 exec, exec, s[0:1]
	s_movk_i32 s0, 0x82
	v_add_u32_e32 v7, 0xffffff7e, v3
	v_cmp_gt_u32_e64 s[0:1], s0, v3
	v_cndmask_b32_e64 v70, v7, v3, s[0:1]
	v_mul_i32_i24_e32 v15, 6, v70
	v_mov_b32_e32 v16, 0
	v_lshlrev_b64 v[15:16], 3, v[15:16]
	v_mov_b32_e32 v7, s13
	v_add_co_u32_e64 v15, s[0:1], s12, v15
	v_addc_co_u32_e64 v16, s[0:1], v7, v16, s[0:1]
	v_add_u32_e32 v7, 0xb6, v3
	s_movk_i32 s0, 0xfc1
	global_load_dwordx4 v[46:49], v[15:16], off offset:960
	global_load_dwordx4 v[50:53], v[15:16], off offset:976
	;; [unrolled: 1-line block ×3, first 2 shown]
	v_mul_u32_u24_sdwa v15, v7, s0 dst_sel:DWORD dst_unused:UNUSED_PAD src0_sel:WORD_0 src1_sel:DWORD
	v_lshrrev_b32_e32 v15, 19, v15
	v_mul_lo_u16_e32 v15, 0x82, v15
	v_sub_u16_e32 v71, v7, v15
	v_mul_u32_u24_e32 v7, 6, v71
	v_lshlrev_b32_e32 v7, 3, v7
	global_load_dwordx4 v[58:61], v7, s[12:13] offset:960
	global_load_dwordx4 v[62:65], v7, s[12:13] offset:976
	;; [unrolled: 1-line block ×3, first 2 shown]
	s_mov_b32 s6, 0xbf5ff5aa
	s_mov_b32 s7, 0x3f3bfb3b
	;; [unrolled: 1-line block ×4, first 2 shown]
	s_movk_i32 s0, 0x81
	v_cmp_lt_u32_e64 s[0:1], s0, v3
	s_waitcnt vmcnt(0) lgkmcnt(0)
	s_barrier
	v_mul_f32_e32 v7, v22, v47
	v_mul_f32_e32 v15, v21, v49
	;; [unrolled: 1-line block ×11, first 2 shown]
	v_fmac_f32_e32 v7, v41, v46
	v_fmac_f32_e32 v15, v40, v48
	v_fma_f32 v40, v21, v48, -v24
	v_fmac_f32_e32 v39, v32, v52
	v_fma_f32 v32, v19, v52, -v27
	v_fmac_f32_e32 v42, v31, v54
	v_fmac_f32_e32 v43, v30, v56
	v_mul_f32_e32 v19, v35, v63
	v_mul_f32_e32 v21, v33, v67
	;; [unrolled: 1-line block ×3, first 2 shown]
	v_fmac_f32_e32 v16, v38, v50
	v_fma_f32 v38, v20, v50, -v25
	v_fma_f32 v31, v18, v54, -v28
	;; [unrolled: 1-line block ×3, first 2 shown]
	v_mul_f32_e32 v17, v37, v59
	v_mul_f32_e32 v25, v12, v63
	;; [unrolled: 1-line block ×3, first 2 shown]
	v_fmac_f32_e32 v19, v12, v62
	v_fmac_f32_e32 v21, v10, v66
	v_add_f32_e32 v10, v7, v43
	v_add_f32_e32 v12, v15, v42
	v_fma_f32 v41, v22, v46, -v23
	v_mul_f32_e32 v23, v14, v59
	v_mul_f32_e32 v18, v36, v61
	v_mul_f32_e32 v27, v11, v65
	v_mul_f32_e32 v22, v45, v69
	v_mul_f32_e32 v30, v29, v69
	v_fmac_f32_e32 v17, v14, v58
	v_fma_f32 v28, v33, v66, -v28
	v_add_f32_e32 v14, v16, v39
	v_add_f32_e32 v33, v12, v10
	v_mul_f32_e32 v24, v13, v61
	v_mul_f32_e32 v20, v34, v65
	v_fmac_f32_e32 v18, v13, v60
	v_fma_f32 v27, v34, v64, -v27
	v_fmac_f32_e32 v22, v29, v68
	v_fma_f32 v29, v45, v68, -v30
	v_sub_f32_e32 v13, v40, v31
	v_sub_f32_e32 v30, v32, v38
	;; [unrolled: 1-line block ×5, first 2 shown]
	v_add_f32_e32 v14, v14, v33
	v_fma_f32 v24, v36, v60, -v24
	v_fma_f32 v25, v35, v62, -v25
	v_fmac_f32_e32 v20, v11, v64
	v_sub_f32_e32 v11, v41, v44
	v_add_f32_e32 v35, v30, v13
	v_sub_f32_e32 v36, v30, v13
	v_add_f32_e32 v9, v9, v14
	v_fma_f32 v23, v37, v58, -v23
	v_sub_f32_e32 v30, v11, v30
	v_sub_f32_e32 v13, v13, v11
	v_add_f32_e32 v11, v35, v11
	v_mul_f32_e32 v10, 0x3f4a47b2, v10
	v_mul_f32_e32 v33, 0x3d64c772, v12
	;; [unrolled: 1-line block ×3, first 2 shown]
	v_mov_b32_e32 v37, v9
	v_mul_f32_e32 v36, 0xbf5ff5aa, v13
	v_fmac_f32_e32 v37, 0xbf955555, v14
	v_fma_f32 v14, v34, s7, -v33
	v_fma_f32 v33, v34, s8, -v10
	v_fmac_f32_e32 v10, 0x3d64c772, v12
	v_fma_f32 v12, v13, s6, -v35
	v_fma_f32 v13, v30, s9, -v36
	v_add_f32_e32 v14, v14, v37
	v_fmac_f32_e32 v12, 0xbee1c552, v11
	v_fmac_f32_e32 v35, 0xbeae86e6, v30
	v_add_f32_e32 v10, v10, v37
	v_add_f32_e32 v30, v33, v37
	v_fmac_f32_e32 v13, 0xbee1c552, v11
	v_sub_f32_e32 v37, v14, v12
	v_add_f32_e32 v12, v12, v14
	v_mov_b32_e32 v14, 0xe38
	v_add_f32_e32 v36, v13, v30
	v_sub_f32_e32 v13, v30, v13
	v_cndmask_b32_e64 v14, 0, v14, s[0:1]
	v_lshlrev_b32_e32 v30, 2, v70
	v_fmac_f32_e32 v35, 0xbee1c552, v11
	v_add3_u32 v33, 0, v14, v30
	v_add_f32_e32 v11, v35, v10
	v_sub_f32_e32 v10, v10, v35
	v_add_u32_e32 v34, 0x400, v33
	v_add_u32_e32 v35, 0x800, v33
	v_lshl_add_u32 v30, v71, 2, 0
	ds_write2_b32 v33, v9, v11 offset1:130
	ds_write2_b32 v34, v36, v37 offset0:4 offset1:134
	ds_write2_b32 v35, v12, v13 offset0:8 offset1:138
	ds_write_b32 v33, v10 offset:3120
	s_and_saveexec_b64 s[0:1], s[2:3]
	s_cbranch_execz .LBB0_27
; %bb.26:
	v_add_f32_e32 v9, v17, v22
	v_add_f32_e32 v10, v19, v20
	v_sub_f32_e32 v11, v9, v10
	v_mul_f32_e32 v11, 0x3f4a47b2, v11
	v_add_f32_e32 v12, v18, v21
	v_sub_f32_e32 v13, v10, v12
	v_mov_b32_e32 v36, v11
	v_mul_f32_e32 v14, 0x3d64c772, v13
	v_fmac_f32_e32 v36, 0x3d64c772, v13
	v_add_f32_e32 v13, v12, v9
	v_add_f32_e32 v10, v10, v13
	;; [unrolled: 1-line block ×3, first 2 shown]
	v_mov_b32_e32 v13, v8
	v_sub_f32_e32 v37, v27, v25
	v_sub_f32_e32 v46, v24, v28
	v_fmac_f32_e32 v13, 0xbf955555, v10
	v_sub_f32_e32 v47, v37, v46
	v_add_f32_e32 v10, v36, v13
	v_sub_f32_e32 v36, v23, v29
	v_mul_f32_e32 v47, 0x3f08b237, v47
	v_sub_f32_e32 v45, v36, v37
	v_mov_b32_e32 v48, v47
	v_add_f32_e32 v37, v37, v46
	v_sub_f32_e32 v9, v12, v9
	v_sub_f32_e32 v12, v46, v36
	v_fmac_f32_e32 v48, 0xbeae86e6, v45
	v_add_f32_e32 v37, v37, v36
	v_fma_f32 v11, v9, s8, -v11
	v_mul_f32_e32 v36, 0xbf5ff5aa, v12
	v_fma_f32 v12, v12, s6, -v47
	v_fma_f32 v9, v9, s7, -v14
	v_fmac_f32_e32 v48, 0xbee1c552, v37
	v_fma_f32 v36, v45, s9, -v36
	v_fmac_f32_e32 v12, 0xbee1c552, v37
	v_add_f32_e32 v9, v9, v13
	v_sub_f32_e32 v49, v10, v48
	v_add_f32_e32 v11, v11, v13
	v_fmac_f32_e32 v36, 0xbee1c552, v37
	v_add_f32_e32 v13, v12, v9
	v_sub_f32_e32 v9, v9, v12
	v_add_f32_e32 v10, v48, v10
	v_add_u32_e32 v12, 0xe00, v30
	v_sub_f32_e32 v45, v11, v36
	v_add_f32_e32 v11, v36, v11
	ds_write2_b32 v12, v8, v10 offset0:14 offset1:144
	v_add_u32_e32 v8, 0x1200, v30
	ds_write2_b32 v8, v11, v9 offset0:18 offset1:148
	v_add_u32_e32 v8, 0x1600, v30
	ds_write2_b32 v8, v13, v45 offset0:22 offset1:152
	ds_write_b32 v30, v49 offset:6760
.LBB0_27:
	s_or_b64 exec, exec, s[0:1]
	v_add_f32_e32 v8, v41, v44
	v_add_f32_e32 v9, v40, v31
	;; [unrolled: 1-line block ×4, first 2 shown]
	v_sub_f32_e32 v10, v15, v42
	v_sub_f32_e32 v12, v39, v16
	;; [unrolled: 1-line block ×5, first 2 shown]
	v_add_f32_e32 v11, v11, v13
	v_sub_f32_e32 v7, v7, v43
	v_add_f32_e32 v15, v12, v10
	v_sub_f32_e32 v16, v12, v10
	;; [unrolled: 2-line block ×3, first 2 shown]
	v_sub_f32_e32 v10, v10, v7
	v_add_f32_e32 v7, v15, v7
	v_mul_f32_e32 v8, 0x3f4a47b2, v8
	v_mul_f32_e32 v13, 0x3d64c772, v9
	;; [unrolled: 1-line block ×3, first 2 shown]
	v_mov_b32_e32 v31, v4
	v_fmac_f32_e32 v31, 0xbf955555, v11
	v_fma_f32 v11, v14, s7, -v13
	v_fma_f32 v13, v14, s8, -v8
	v_fmac_f32_e32 v8, 0x3d64c772, v9
	v_fma_f32 v9, v10, s6, -v15
	v_mul_f32_e32 v16, 0xbf5ff5aa, v10
	v_fmac_f32_e32 v15, 0xbeae86e6, v12
	v_add_f32_e32 v11, v11, v31
	v_fmac_f32_e32 v9, 0xbee1c552, v7
	v_fma_f32 v10, v12, s9, -v16
	v_add_f32_e32 v8, v8, v31
	v_fmac_f32_e32 v15, 0xbee1c552, v7
	v_add_f32_e32 v36, v9, v11
	v_sub_f32_e32 v37, v11, v9
	v_add_u32_e32 v11, 0x1000, v0
	v_add_f32_e32 v12, v13, v31
	v_fmac_f32_e32 v10, 0xbee1c552, v7
	v_sub_f32_e32 v31, v8, v15
	v_add_f32_e32 v39, v15, v8
	s_waitcnt lgkmcnt(0)
	s_barrier
	v_add_u32_e32 v9, 0xb00, v0
	ds_read2_b32 v[13:14], v11 offset0:68 offset1:250
	v_add_u32_e32 v11, 0x500, v0
	v_add_u32_e32 v15, 0x1600, v0
	v_sub_f32_e32 v32, v12, v10
	v_add_f32_e32 v38, v10, v12
	ds_read2_b32 v[7:8], v0 offset1:182
	ds_read2_b32 v[9:10], v9 offset0:24 offset1:206
	ds_read2_b32 v[11:12], v11 offset0:44 offset1:226
	;; [unrolled: 1-line block ×3, first 2 shown]
	s_waitcnt lgkmcnt(0)
	s_barrier
	ds_write2_b32 v33, v4, v31 offset1:130
	ds_write2_b32 v34, v32, v36 offset0:4 offset1:134
	ds_write2_b32 v35, v37, v38 offset0:8 offset1:138
	ds_write_b32 v33, v39 offset:3120
	s_and_saveexec_b64 s[0:1], s[2:3]
	s_cbranch_execz .LBB0_29
; %bb.28:
	v_add_f32_e32 v4, v23, v29
	v_sub_f32_e32 v17, v17, v22
	v_add_f32_e32 v22, v24, v28
	v_sub_f32_e32 v18, v18, v21
	;; [unrolled: 2-line block ×3, first 2 shown]
	v_add_f32_e32 v20, v22, v4
	v_add_f32_e32 v20, v21, v20
	v_sub_f32_e32 v23, v22, v4
	v_sub_f32_e32 v4, v4, v21
	;; [unrolled: 1-line block ×3, first 2 shown]
	v_add_f32_e32 v24, v19, v18
	v_add_f32_e32 v21, v26, v20
	v_sub_f32_e32 v25, v19, v18
	v_sub_f32_e32 v19, v17, v19
	;; [unrolled: 1-line block ×3, first 2 shown]
	v_add_f32_e32 v17, v24, v17
	v_mul_f32_e32 v24, 0x3d64c772, v22
	v_mov_b32_e32 v27, v21
	s_mov_b32 s3, 0x3f3bfb3b
	v_mul_f32_e32 v4, 0x3f4a47b2, v4
	v_mul_f32_e32 v25, 0x3f08b237, v25
	s_mov_b32 s2, 0xbf5ff5aa
	v_fmac_f32_e32 v27, 0xbf955555, v20
	v_fma_f32 v20, v23, s3, -v24
	s_mov_b32 s3, 0xbf3bfb3b
	v_mul_f32_e32 v26, 0xbf5ff5aa, v18
	v_fma_f32 v23, v23, s3, -v4
	v_fmac_f32_e32 v4, 0x3d64c772, v22
	v_fma_f32 v18, v18, s2, -v25
	v_fmac_f32_e32 v25, 0xbeae86e6, v19
	s_mov_b32 s2, 0x3eae86e6
	v_fma_f32 v19, v19, s2, -v26
	v_add_f32_e32 v4, v4, v27
	v_add_f32_e32 v20, v20, v27
	v_fmac_f32_e32 v25, 0xbee1c552, v17
	v_fmac_f32_e32 v18, 0xbee1c552, v17
	v_add_f32_e32 v22, v23, v27
	v_fmac_f32_e32 v19, 0xbee1c552, v17
	v_sub_f32_e32 v17, v4, v25
	v_add_f32_e32 v24, v18, v20
	v_sub_f32_e32 v18, v20, v18
	v_add_u32_e32 v20, 0xe00, v30
	v_sub_f32_e32 v23, v22, v19
	ds_write2_b32 v20, v21, v17 offset0:14 offset1:144
	v_add_u32_e32 v17, 0x1200, v30
	v_add_f32_e32 v19, v19, v22
	ds_write2_b32 v17, v23, v24 offset0:18 offset1:148
	v_add_u32_e32 v17, 0x1600, v30
	v_add_f32_e32 v4, v25, v4
	ds_write2_b32 v17, v18, v19 offset0:22 offset1:152
	ds_write_b32 v30, v4 offset:6760
.LBB0_29:
	s_or_b64 exec, exec, s[0:1]
	s_waitcnt lgkmcnt(0)
	s_barrier
	s_and_saveexec_b64 s[0:1], vcc
	s_cbranch_execz .LBB0_31
; %bb.30:
	v_add_u32_e32 v18, 0x2d8, v3
	v_mov_b32_e32 v19, 0
	v_lshlrev_b64 v[20:21], 3, v[18:19]
	v_mov_b32_e32 v26, s13
	v_add_co_u32_e32 v4, vcc, s12, v20
	v_addc_co_u32_e32 v18, vcc, v26, v21, vcc
	s_movk_i32 s0, 0x1000
	v_add_co_u32_e32 v20, vcc, s0, v4
	v_add_u32_e32 v17, 0x222, v3
	v_addc_co_u32_e32 v21, vcc, 0, v18, vcc
	v_mov_b32_e32 v18, v19
	v_lshlrev_b64 v[17:18], 3, v[17:18]
	s_movk_i32 s1, 0x2000
	v_add_co_u32_e32 v4, vcc, s12, v17
	v_addc_co_u32_e32 v18, vcc, v26, v18, vcc
	v_add_co_u32_e32 v17, vcc, s0, v4
	v_addc_co_u32_e32 v18, vcc, 0, v18, vcc
	v_mov_b32_e32 v4, v19
	global_load_dwordx2 v[22:23], v[20:21], off offset:3104
	global_load_dwordx2 v[24:25], v[17:18], off offset:3104
	v_lshlrev_b64 v[17:18], 3, v[3:4]
	v_add_u32_e32 v30, 0xb00, v0
	v_add_co_u32_e32 v4, vcc, s12, v17
	v_addc_co_u32_e32 v21, vcc, v26, v18, vcc
	v_add_co_u32_e32 v17, vcc, s1, v4
	v_addc_co_u32_e32 v18, vcc, 0, v21, vcc
	global_load_dwordx2 v[19:20], v[17:18], off offset:1920
	global_load_dwordx2 v[26:27], v[17:18], off offset:464
	v_add_co_u32_e32 v17, vcc, s0, v4
	v_addc_co_u32_e32 v18, vcc, 0, v21, vcc
	global_load_dwordx2 v[17:18], v[17:18], off offset:3104
	v_add_u32_e32 v32, 0x1600, v0
	v_add_u32_e32 v34, 0x500, v0
	v_add_u32_e32 v36, 0x1000, v0
	v_mul_lo_u32 v21, s5, v5
	v_mul_lo_u32 v6, s4, v6
	v_mad_u64_u32 v[4:5], s[0:1], s4, v5, 0
	ds_read2_b32 v[28:29], v0 offset1:182
	v_lshrrev_b32_e32 v0, 1, v3
	ds_read2_b32 v[30:31], v30 offset0:24 offset1:206
	ds_read2_b32 v[32:33], v32 offset0:48 offset1:230
	;; [unrolled: 1-line block ×4, first 2 shown]
	s_mov_b32 s2, 0x90090091
	v_mul_hi_u32 v0, v0, s2
	v_add3_u32 v5, v5, v6, v21
	v_lshlrev_b64 v[4:5], 3, v[4:5]
	s_movk_i32 s3, 0x71c
	v_lshrrev_b32_e32 v0, 8, v0
	v_mul_u32_u24_e32 v0, 0x38e, v0
	v_add_co_u32_e32 v4, vcc, s10, v4
	s_waitcnt vmcnt(4)
	v_mul_f32_e32 v6, v16, v23
	s_waitcnt lgkmcnt(2)
	v_mul_f32_e32 v23, v33, v23
	v_fma_f32 v6, v33, v22, -v6
	v_fmac_f32_e32 v23, v16, v22
	s_waitcnt vmcnt(3)
	v_mul_f32_e32 v16, v15, v25
	v_mul_f32_e32 v22, v32, v25
	v_fmac_f32_e32 v22, v15, v24
	v_sub_f32_e32 v21, v30, v6
	v_sub_f32_e32 v15, v12, v22
	v_fma_f32 v6, v32, v24, -v16
	s_waitcnt lgkmcnt(1)
	v_sub_f32_e32 v16, v35, v6
	s_waitcnt vmcnt(2)
	v_mul_f32_e32 v25, v14, v20
	s_waitcnt lgkmcnt(0)
	v_mul_f32_e32 v33, v37, v20
	s_waitcnt vmcnt(1)
	v_mul_f32_e32 v38, v13, v27
	v_sub_f32_e32 v20, v9, v23
	v_fma_f32 v23, v37, v19, -v25
	v_fmac_f32_e32 v33, v14, v19
	v_fma_f32 v19, v36, v26, -v38
	v_mul_f32_e32 v27, v36, v27
	v_sub_f32_e32 v22, v11, v33
	v_sub_f32_e32 v25, v29, v19
	v_sub_u32_e32 v33, v3, v0
	v_fmac_f32_e32 v27, v13, v26
	v_fma_f32 v14, v30, 2.0, -v21
	v_fma_f32 v13, v9, 2.0, -v20
	;; [unrolled: 1-line block ×3, first 2 shown]
	v_mad_u64_u32 v[29:30], s[0:1], s20, v33, 0
	s_waitcnt vmcnt(0)
	v_mul_f32_e32 v6, v10, v18
	v_fma_f32 v6, v31, v17, -v6
	v_mov_b32_e32 v0, v30
	v_sub_f32_e32 v19, v28, v6
	v_mul_f32_e32 v6, v31, v18
	v_mad_u64_u32 v[30:31], s[0:1], s21, v33, v[0:1]
	v_mov_b32_e32 v0, s11
	v_fmac_f32_e32 v6, v10, v17
	v_addc_co_u32_e32 v5, vcc, v0, v5, vcc
	v_lshlrev_b64 v[0:1], 3, v[1:2]
	v_sub_f32_e32 v18, v7, v6
	v_fma_f32 v31, v7, 2.0, -v18
	v_add_co_u32_e32 v10, vcc, v4, v0
	v_add_u32_e32 v6, 0x38e, v33
	v_add_u32_e32 v7, 0xb6, v3
	v_addc_co_u32_e32 v17, vcc, v5, v1, vcc
	v_mad_u64_u32 v[4:5], s[0:1], s20, v6, 0
	v_lshrrev_b32_e32 v2, 1, v7
	v_fma_f32 v32, v28, 2.0, -v19
	v_mul_hi_u32 v28, v2, s2
	v_mov_b32_e32 v2, v5
	v_mad_u64_u32 v[5:6], s[0:1], s21, v6, v[2:3]
	v_lshrrev_b32_e32 v2, 8, v28
	v_mul_u32_u24_e32 v6, 0x38e, v2
	v_sub_u32_e32 v6, v7, v6
	v_mad_u32_u24 v28, v2, s3, v6
	v_mad_u64_u32 v[6:7], s[0:1], s20, v28, 0
	v_lshlrev_b64 v[0:1], 3, v[29:30]
	v_sub_f32_e32 v24, v8, v27
	v_add_co_u32_e32 v0, vcc, v10, v0
	v_addc_co_u32_e32 v1, vcc, v17, v1, vcc
	v_mov_b32_e32 v2, v7
	global_store_dwordx2 v[0:1], v[31:32], off
	v_lshlrev_b64 v[0:1], 3, v[4:5]
	v_mad_u64_u32 v[4:5], s[0:1], s21, v28, v[2:3]
	v_add_co_u32_e32 v0, vcc, v10, v0
	v_addc_co_u32_e32 v1, vcc, v17, v1, vcc
	v_mov_b32_e32 v7, v4
	global_store_dwordx2 v[0:1], v[18:19], off
	v_lshlrev_b64 v[0:1], 3, v[6:7]
	v_add_u32_e32 v6, 0x38e, v28
	v_add_u32_e32 v7, 0x16c, v3
	v_mad_u64_u32 v[4:5], s[0:1], s20, v6, 0
	v_lshrrev_b32_e32 v2, 1, v7
	v_mul_hi_u32 v18, v2, s2
	v_mov_b32_e32 v2, v5
	v_mad_u64_u32 v[5:6], s[0:1], s21, v6, v[2:3]
	v_lshrrev_b32_e32 v2, 8, v18
	v_mul_u32_u24_e32 v6, 0x38e, v2
	v_sub_u32_e32 v6, v7, v6
	v_mad_u32_u24 v18, v2, s3, v6
	v_mad_u64_u32 v[6:7], s[0:1], s20, v18, 0
	v_add_co_u32_e32 v0, vcc, v10, v0
	v_fma_f32 v8, v8, 2.0, -v24
	v_addc_co_u32_e32 v1, vcc, v17, v1, vcc
	v_mov_b32_e32 v2, v7
	global_store_dwordx2 v[0:1], v[8:9], off
	v_lshlrev_b64 v[0:1], 3, v[4:5]
	v_mad_u64_u32 v[4:5], s[0:1], s21, v18, v[2:3]
	v_add_co_u32_e32 v0, vcc, v10, v0
	v_addc_co_u32_e32 v1, vcc, v17, v1, vcc
	v_mov_b32_e32 v7, v4
	global_store_dwordx2 v[0:1], v[24:25], off
	v_lshlrev_b64 v[0:1], 3, v[6:7]
	v_add_u32_e32 v6, 0x38e, v18
	v_add_u32_e32 v7, 0x222, v3
	v_mad_u64_u32 v[4:5], s[0:1], s20, v6, 0
	v_lshrrev_b32_e32 v2, 1, v7
	v_mul_hi_u32 v8, v2, s2
	v_mov_b32_e32 v2, v5
	v_mad_u64_u32 v[5:6], s[0:1], s21, v6, v[2:3]
	v_lshrrev_b32_e32 v2, 8, v8
	v_mul_u32_u24_e32 v6, 0x38e, v2
	v_sub_u32_e32 v6, v7, v6
	v_mad_u32_u24 v8, v2, s3, v6
	v_mad_u64_u32 v[6:7], s[0:1], s20, v8, 0
	v_sub_f32_e32 v23, v34, v23
	v_add_co_u32_e32 v0, vcc, v10, v0
	v_fma_f32 v26, v12, 2.0, -v15
	v_fma_f32 v12, v34, 2.0, -v23
	;; [unrolled: 1-line block ×3, first 2 shown]
	v_addc_co_u32_e32 v1, vcc, v17, v1, vcc
	v_mov_b32_e32 v2, v7
	global_store_dwordx2 v[0:1], v[11:12], off
	v_lshlrev_b64 v[0:1], 3, v[4:5]
	v_mad_u64_u32 v[4:5], s[0:1], s21, v8, v[2:3]
	v_add_co_u32_e32 v0, vcc, v10, v0
	v_addc_co_u32_e32 v1, vcc, v17, v1, vcc
	v_mov_b32_e32 v7, v4
	global_store_dwordx2 v[0:1], v[22:23], off
	v_lshlrev_b64 v[0:1], 3, v[6:7]
	v_add_u32_e32 v6, 0x38e, v8
	v_mad_u64_u32 v[4:5], s[0:1], s20, v6, 0
	v_add_co_u32_e32 v0, vcc, v10, v0
	v_mov_b32_e32 v2, v5
	v_mad_u64_u32 v[5:6], s[0:1], s21, v6, v[2:3]
	v_add_u32_e32 v2, 0x2d8, v3
	v_lshrrev_b32_e32 v3, 1, v2
	v_mul_hi_u32 v3, v3, s2
	v_fma_f32 v27, v35, 2.0, -v16
	v_addc_co_u32_e32 v1, vcc, v17, v1, vcc
	v_lshrrev_b32_e32 v3, 8, v3
	global_store_dwordx2 v[0:1], v[26:27], off
	v_lshlrev_b64 v[0:1], 3, v[4:5]
	v_mul_u32_u24_e32 v4, 0x38e, v3
	v_sub_u32_e32 v2, v2, v4
	v_mad_u32_u24 v5, v3, s3, v2
	v_mad_u64_u32 v[2:3], s[0:1], s20, v5, 0
	v_add_u32_e32 v6, 0x38e, v5
	v_add_co_u32_e32 v0, vcc, v10, v0
	v_mad_u64_u32 v[3:4], s[0:1], s21, v5, v[3:4]
	v_mad_u64_u32 v[4:5], s[0:1], s20, v6, 0
	v_addc_co_u32_e32 v1, vcc, v17, v1, vcc
	global_store_dwordx2 v[0:1], v[15:16], off
	v_lshlrev_b64 v[0:1], 3, v[2:3]
	v_mov_b32_e32 v2, v5
	v_mad_u64_u32 v[2:3], s[0:1], s21, v6, v[2:3]
	v_add_co_u32_e32 v0, vcc, v10, v0
	v_addc_co_u32_e32 v1, vcc, v17, v1, vcc
	v_mov_b32_e32 v5, v2
	global_store_dwordx2 v[0:1], v[13:14], off
	v_lshlrev_b64 v[0:1], 3, v[4:5]
	v_add_co_u32_e32 v0, vcc, v10, v0
	v_addc_co_u32_e32 v1, vcc, v17, v1, vcc
	global_store_dwordx2 v[0:1], v[20:21], off
.LBB0_31:
	s_endpgm
	.section	.rodata,"a",@progbits
	.p2align	6, 0x0
	.amdhsa_kernel fft_rtc_back_len1820_factors_10_13_7_2_wgs_182_tpt_182_halfLds_sp_op_CI_CI_sbrr_dirReg
		.amdhsa_group_segment_fixed_size 0
		.amdhsa_private_segment_fixed_size 0
		.amdhsa_kernarg_size 104
		.amdhsa_user_sgpr_count 6
		.amdhsa_user_sgpr_private_segment_buffer 1
		.amdhsa_user_sgpr_dispatch_ptr 0
		.amdhsa_user_sgpr_queue_ptr 0
		.amdhsa_user_sgpr_kernarg_segment_ptr 1
		.amdhsa_user_sgpr_dispatch_id 0
		.amdhsa_user_sgpr_flat_scratch_init 0
		.amdhsa_user_sgpr_private_segment_size 0
		.amdhsa_uses_dynamic_stack 0
		.amdhsa_system_sgpr_private_segment_wavefront_offset 0
		.amdhsa_system_sgpr_workgroup_id_x 1
		.amdhsa_system_sgpr_workgroup_id_y 0
		.amdhsa_system_sgpr_workgroup_id_z 0
		.amdhsa_system_sgpr_workgroup_info 0
		.amdhsa_system_vgpr_workitem_id 0
		.amdhsa_next_free_vgpr 113
		.amdhsa_next_free_sgpr 32
		.amdhsa_reserve_vcc 1
		.amdhsa_reserve_flat_scratch 0
		.amdhsa_float_round_mode_32 0
		.amdhsa_float_round_mode_16_64 0
		.amdhsa_float_denorm_mode_32 3
		.amdhsa_float_denorm_mode_16_64 3
		.amdhsa_dx10_clamp 1
		.amdhsa_ieee_mode 1
		.amdhsa_fp16_overflow 0
		.amdhsa_exception_fp_ieee_invalid_op 0
		.amdhsa_exception_fp_denorm_src 0
		.amdhsa_exception_fp_ieee_div_zero 0
		.amdhsa_exception_fp_ieee_overflow 0
		.amdhsa_exception_fp_ieee_underflow 0
		.amdhsa_exception_fp_ieee_inexact 0
		.amdhsa_exception_int_div_zero 0
	.end_amdhsa_kernel
	.text
.Lfunc_end0:
	.size	fft_rtc_back_len1820_factors_10_13_7_2_wgs_182_tpt_182_halfLds_sp_op_CI_CI_sbrr_dirReg, .Lfunc_end0-fft_rtc_back_len1820_factors_10_13_7_2_wgs_182_tpt_182_halfLds_sp_op_CI_CI_sbrr_dirReg
                                        ; -- End function
	.section	.AMDGPU.csdata,"",@progbits
; Kernel info:
; codeLenInByte = 10000
; NumSgprs: 36
; NumVgprs: 113
; ScratchSize: 0
; MemoryBound: 0
; FloatMode: 240
; IeeeMode: 1
; LDSByteSize: 0 bytes/workgroup (compile time only)
; SGPRBlocks: 4
; VGPRBlocks: 28
; NumSGPRsForWavesPerEU: 36
; NumVGPRsForWavesPerEU: 113
; Occupancy: 2
; WaveLimiterHint : 1
; COMPUTE_PGM_RSRC2:SCRATCH_EN: 0
; COMPUTE_PGM_RSRC2:USER_SGPR: 6
; COMPUTE_PGM_RSRC2:TRAP_HANDLER: 0
; COMPUTE_PGM_RSRC2:TGID_X_EN: 1
; COMPUTE_PGM_RSRC2:TGID_Y_EN: 0
; COMPUTE_PGM_RSRC2:TGID_Z_EN: 0
; COMPUTE_PGM_RSRC2:TIDIG_COMP_CNT: 0
	.type	__hip_cuid_b8f054dedaa166de,@object ; @__hip_cuid_b8f054dedaa166de
	.section	.bss,"aw",@nobits
	.globl	__hip_cuid_b8f054dedaa166de
__hip_cuid_b8f054dedaa166de:
	.byte	0                               ; 0x0
	.size	__hip_cuid_b8f054dedaa166de, 1

	.ident	"AMD clang version 19.0.0git (https://github.com/RadeonOpenCompute/llvm-project roc-6.4.0 25133 c7fe45cf4b819c5991fe208aaa96edf142730f1d)"
	.section	".note.GNU-stack","",@progbits
	.addrsig
	.addrsig_sym __hip_cuid_b8f054dedaa166de
	.amdgpu_metadata
---
amdhsa.kernels:
  - .args:
      - .actual_access:  read_only
        .address_space:  global
        .offset:         0
        .size:           8
        .value_kind:     global_buffer
      - .offset:         8
        .size:           8
        .value_kind:     by_value
      - .actual_access:  read_only
        .address_space:  global
        .offset:         16
        .size:           8
        .value_kind:     global_buffer
      - .actual_access:  read_only
        .address_space:  global
        .offset:         24
        .size:           8
        .value_kind:     global_buffer
      - .actual_access:  read_only
        .address_space:  global
        .offset:         32
        .size:           8
        .value_kind:     global_buffer
      - .offset:         40
        .size:           8
        .value_kind:     by_value
      - .actual_access:  read_only
        .address_space:  global
        .offset:         48
        .size:           8
        .value_kind:     global_buffer
      - .actual_access:  read_only
        .address_space:  global
        .offset:         56
        .size:           8
        .value_kind:     global_buffer
      - .offset:         64
        .size:           4
        .value_kind:     by_value
      - .actual_access:  read_only
        .address_space:  global
        .offset:         72
        .size:           8
        .value_kind:     global_buffer
      - .actual_access:  read_only
        .address_space:  global
        .offset:         80
        .size:           8
        .value_kind:     global_buffer
      - .actual_access:  read_only
        .address_space:  global
        .offset:         88
        .size:           8
        .value_kind:     global_buffer
      - .actual_access:  write_only
        .address_space:  global
        .offset:         96
        .size:           8
        .value_kind:     global_buffer
    .group_segment_fixed_size: 0
    .kernarg_segment_align: 8
    .kernarg_segment_size: 104
    .language:       OpenCL C
    .language_version:
      - 2
      - 0
    .max_flat_workgroup_size: 182
    .name:           fft_rtc_back_len1820_factors_10_13_7_2_wgs_182_tpt_182_halfLds_sp_op_CI_CI_sbrr_dirReg
    .private_segment_fixed_size: 0
    .sgpr_count:     36
    .sgpr_spill_count: 0
    .symbol:         fft_rtc_back_len1820_factors_10_13_7_2_wgs_182_tpt_182_halfLds_sp_op_CI_CI_sbrr_dirReg.kd
    .uniform_work_group_size: 1
    .uses_dynamic_stack: false
    .vgpr_count:     113
    .vgpr_spill_count: 0
    .wavefront_size: 64
amdhsa.target:   amdgcn-amd-amdhsa--gfx906
amdhsa.version:
  - 1
  - 2
...

	.end_amdgpu_metadata
